;; amdgpu-corpus repo=ROCm/rocFFT kind=compiled arch=gfx906 opt=O3
	.text
	.amdgcn_target "amdgcn-amd-amdhsa--gfx906"
	.amdhsa_code_object_version 6
	.protected	fft_rtc_back_len168_factors_7_6_4_wgs_252_tpt_42_halfLds_half_ip_CI_sbcc_twdbase5_3step ; -- Begin function fft_rtc_back_len168_factors_7_6_4_wgs_252_tpt_42_halfLds_half_ip_CI_sbcc_twdbase5_3step
	.globl	fft_rtc_back_len168_factors_7_6_4_wgs_252_tpt_42_halfLds_half_ip_CI_sbcc_twdbase5_3step
	.p2align	8
	.type	fft_rtc_back_len168_factors_7_6_4_wgs_252_tpt_42_halfLds_half_ip_CI_sbcc_twdbase5_3step,@function
fft_rtc_back_len168_factors_7_6_4_wgs_252_tpt_42_halfLds_half_ip_CI_sbcc_twdbase5_3step: ; @fft_rtc_back_len168_factors_7_6_4_wgs_252_tpt_42_halfLds_half_ip_CI_sbcc_twdbase5_3step
; %bb.0:
	s_load_dwordx8 s[8:15], s[4:5], 0x8
	s_movk_i32 s0, 0x60
	v_cmp_gt_u32_e32 vcc, s0, v0
	s_and_saveexec_b64 s[0:1], vcc
	s_cbranch_execz .LBB0_2
; %bb.1:
	v_lshlrev_b32_e32 v1, 2, v0
	s_waitcnt lgkmcnt(0)
	global_load_dword v2, v1, s[8:9]
	v_add_u32_e32 v1, 0, v1
	s_waitcnt vmcnt(0)
	ds_write_b32 v1, v2 offset:2016
.LBB0_2:
	s_or_b64 exec, exec, s[0:1]
	s_waitcnt lgkmcnt(0)
	s_load_dwordx2 s[20:21], s[12:13], 0x8
	s_mov_b32 s7, 0
	s_mov_b64 s[24:25], 0
	s_waitcnt lgkmcnt(0)
	s_add_u32 s0, s20, -1
	s_addc_u32 s1, s21, -1
	s_add_u32 s2, 0, 0xaaa80000
	s_addc_u32 s3, 0, 0xaa
	s_mul_hi_u32 s9, s2, -6
	s_add_i32 s3, s3, 0x2aaaaa00
	s_sub_i32 s9, s9, s2
	s_mul_i32 s18, s3, -6
	s_mul_i32 s8, s2, -6
	s_add_i32 s9, s9, s18
	s_mul_hi_u32 s16, s3, s8
	s_mul_i32 s17, s3, s8
	s_mul_i32 s19, s2, s9
	s_mul_hi_u32 s8, s2, s8
	s_mul_hi_u32 s18, s2, s9
	s_add_u32 s8, s8, s19
	s_addc_u32 s18, 0, s18
	s_add_u32 s8, s8, s17
	s_mul_hi_u32 s19, s3, s9
	s_addc_u32 s8, s18, s16
	s_addc_u32 s16, s19, 0
	s_mul_i32 s9, s3, s9
	s_add_u32 s8, s8, s9
	v_mov_b32_e32 v1, s8
	s_addc_u32 s9, 0, s16
	v_add_co_u32_e32 v1, vcc, s2, v1
	s_cmp_lg_u64 vcc, 0
	s_addc_u32 s2, s3, s9
	v_readfirstlane_b32 s9, v1
	s_mul_i32 s8, s0, s2
	s_mul_hi_u32 s16, s0, s9
	s_mul_hi_u32 s3, s0, s2
	s_add_u32 s8, s16, s8
	s_addc_u32 s3, 0, s3
	s_mul_hi_u32 s17, s1, s9
	s_mul_i32 s9, s1, s9
	s_add_u32 s8, s8, s9
	s_mul_hi_u32 s16, s1, s2
	s_addc_u32 s3, s3, s17
	s_addc_u32 s8, s16, 0
	s_mul_i32 s2, s1, s2
	s_add_u32 s2, s3, s2
	s_addc_u32 s3, 0, s8
	s_add_u32 s8, s2, 1
	s_addc_u32 s9, s3, 0
	s_add_u32 s16, s2, 2
	s_mul_i32 s18, s3, 6
	s_mul_hi_u32 s19, s2, 6
	s_addc_u32 s17, s3, 0
	s_add_i32 s19, s19, s18
	s_mul_i32 s18, s2, 6
	v_mov_b32_e32 v1, s18
	v_sub_co_u32_e32 v1, vcc, s0, v1
	s_cmp_lg_u64 vcc, 0
	s_subb_u32 s0, s1, s19
	v_subrev_co_u32_e32 v2, vcc, 6, v1
	s_cmp_lg_u64 vcc, 0
	s_subb_u32 s1, s0, 0
	v_readfirstlane_b32 s18, v2
	s_cmp_gt_u32 s18, 5
	s_cselect_b32 s18, -1, 0
	s_cmp_eq_u32 s1, 0
	s_cselect_b32 s1, s18, -1
	s_cmp_lg_u32 s1, 0
	s_cselect_b32 s1, s16, s8
	s_cselect_b32 s8, s17, s9
	v_readfirstlane_b32 s9, v1
	s_cmp_gt_u32 s9, 5
	s_cselect_b32 s9, -1, 0
	s_cmp_eq_u32 s0, 0
	s_cselect_b32 s0, s9, -1
	s_cmp_lg_u32 s0, 0
	s_cselect_b32 s1, s1, s2
	s_cselect_b32 s0, s8, s3
	s_add_u32 s22, s1, 1
	s_addc_u32 s23, s0, 0
	v_mov_b32_e32 v1, s22
	v_mov_b32_e32 v2, s23
	v_cmp_lt_u64_e32 vcc, s[6:7], v[1:2]
	s_cbranch_vccnz .LBB0_4
; %bb.3:
	v_cvt_f32_u32_e32 v1, s22
	s_sub_i32 s0, 0, s22
	s_mov_b32 s25, s7
	v_rcp_iflag_f32_e32 v1, v1
	v_mul_f32_e32 v1, 0x4f7ffffe, v1
	v_cvt_u32_f32_e32 v1, v1
	v_readfirstlane_b32 s1, v1
	s_mul_i32 s0, s0, s1
	s_mul_hi_u32 s0, s1, s0
	s_add_i32 s1, s1, s0
	s_mul_hi_u32 s0, s6, s1
	s_mul_i32 s2, s0, s22
	s_sub_i32 s2, s6, s2
	s_add_i32 s1, s0, 1
	s_sub_i32 s3, s2, s22
	s_cmp_ge_u32 s2, s22
	s_cselect_b32 s0, s1, s0
	s_cselect_b32 s2, s3, s2
	s_add_i32 s1, s0, 1
	s_cmp_ge_u32 s2, s22
	s_cselect_b32 s24, s1, s0
.LBB0_4:
	s_mul_i32 s0, s24, s23
	s_mul_hi_u32 s1, s24, s22
	s_load_dwordx2 s[2:3], s[4:5], 0x58
	s_load_dwordx2 s[8:9], s[4:5], 0x0
	s_load_dwordx4 s[16:19], s[14:15], 0x0
	s_add_i32 s1, s1, s0
	s_mul_i32 s0, s24, s22
	s_sub_u32 s36, s6, s0
	s_subb_u32 s0, 0, s1
	s_mul_i32 s0, s0, 6
	s_mul_hi_u32 s33, s36, 6
	s_add_i32 s33, s33, s0
	s_mul_i32 s36, s36, 6
	s_waitcnt lgkmcnt(0)
	s_mul_i32 s0, s18, s33
	s_mul_hi_u32 s1, s18, s36
	s_add_i32 s0, s1, s0
	s_mul_i32 s1, s19, s36
	s_add_i32 s37, s0, s1
	v_cmp_lt_u64_e64 s[0:1], s[10:11], 3
	s_mul_i32 s38, s18, s36
	s_and_b64 vcc, exec, s[0:1]
	s_cbranch_vccnz .LBB0_14
; %bb.5:
	s_add_u32 s4, s14, 16
	s_addc_u32 s5, s15, 0
	s_add_u32 s12, s12, 16
	v_mov_b32_e32 v1, s10
	s_addc_u32 s13, s13, 0
	s_mov_b64 s[26:27], 2
	s_mov_b32 s28, 0
	v_mov_b32_e32 v2, s11
.LBB0_6:                                ; =>This Inner Loop Header: Depth=1
	s_load_dwordx2 s[30:31], s[12:13], 0x0
	s_waitcnt lgkmcnt(0)
	s_or_b64 s[0:1], s[24:25], s[30:31]
	s_mov_b32 s29, s1
	s_cmp_lg_u64 s[28:29], 0
	s_cbranch_scc0 .LBB0_11
; %bb.7:                                ;   in Loop: Header=BB0_6 Depth=1
	v_cvt_f32_u32_e32 v3, s30
	v_cvt_f32_u32_e32 v4, s31
	s_sub_u32 s0, 0, s30
	s_subb_u32 s1, 0, s31
	v_mac_f32_e32 v3, 0x4f800000, v4
	v_rcp_f32_e32 v3, v3
	v_mul_f32_e32 v3, 0x5f7ffffc, v3
	v_mul_f32_e32 v4, 0x2f800000, v3
	v_trunc_f32_e32 v4, v4
	v_mac_f32_e32 v3, 0xcf800000, v4
	v_cvt_u32_f32_e32 v4, v4
	v_cvt_u32_f32_e32 v3, v3
	v_readfirstlane_b32 s29, v4
	v_readfirstlane_b32 s34, v3
	s_mul_i32 s35, s0, s29
	s_mul_hi_u32 s40, s0, s34
	s_mul_i32 s39, s1, s34
	s_add_i32 s35, s40, s35
	s_mul_i32 s41, s0, s34
	s_add_i32 s35, s35, s39
	s_mul_hi_u32 s39, s34, s35
	s_mul_i32 s40, s34, s35
	s_mul_hi_u32 s34, s34, s41
	s_add_u32 s34, s34, s40
	s_addc_u32 s39, 0, s39
	s_mul_hi_u32 s42, s29, s41
	s_mul_i32 s41, s29, s41
	s_add_u32 s34, s34, s41
	s_mul_hi_u32 s40, s29, s35
	s_addc_u32 s34, s39, s42
	s_addc_u32 s39, s40, 0
	s_mul_i32 s35, s29, s35
	s_add_u32 s34, s34, s35
	s_addc_u32 s35, 0, s39
	v_add_co_u32_e32 v3, vcc, s34, v3
	s_cmp_lg_u64 vcc, 0
	s_addc_u32 s29, s29, s35
	v_readfirstlane_b32 s35, v3
	s_mul_i32 s34, s0, s29
	s_mul_hi_u32 s39, s0, s35
	s_add_i32 s34, s39, s34
	s_mul_i32 s1, s1, s35
	s_add_i32 s34, s34, s1
	s_mul_i32 s0, s0, s35
	s_mul_hi_u32 s39, s29, s0
	s_mul_i32 s40, s29, s0
	s_mul_i32 s42, s35, s34
	s_mul_hi_u32 s0, s35, s0
	s_mul_hi_u32 s41, s35, s34
	s_add_u32 s0, s0, s42
	s_addc_u32 s35, 0, s41
	s_add_u32 s0, s0, s40
	s_mul_hi_u32 s1, s29, s34
	s_addc_u32 s0, s35, s39
	s_addc_u32 s1, s1, 0
	s_mul_i32 s34, s29, s34
	s_add_u32 s0, s0, s34
	s_addc_u32 s1, 0, s1
	v_add_co_u32_e32 v3, vcc, s0, v3
	s_cmp_lg_u64 vcc, 0
	s_addc_u32 s0, s29, s1
	v_readfirstlane_b32 s34, v3
	s_mul_i32 s29, s24, s0
	s_mul_hi_u32 s35, s24, s34
	s_mul_hi_u32 s1, s24, s0
	s_add_u32 s29, s35, s29
	s_addc_u32 s1, 0, s1
	s_mul_hi_u32 s39, s25, s34
	s_mul_i32 s34, s25, s34
	s_add_u32 s29, s29, s34
	s_mul_hi_u32 s35, s25, s0
	s_addc_u32 s1, s1, s39
	s_addc_u32 s29, s35, 0
	s_mul_i32 s0, s25, s0
	s_add_u32 s34, s1, s0
	s_addc_u32 s29, 0, s29
	s_mul_i32 s0, s30, s29
	s_mul_hi_u32 s1, s30, s34
	s_add_i32 s0, s1, s0
	s_mul_i32 s1, s31, s34
	s_add_i32 s35, s0, s1
	s_mul_i32 s1, s30, s34
	v_mov_b32_e32 v3, s1
	s_sub_i32 s0, s25, s35
	v_sub_co_u32_e32 v3, vcc, s24, v3
	s_cmp_lg_u64 vcc, 0
	s_subb_u32 s39, s0, s31
	v_subrev_co_u32_e64 v4, s[0:1], s30, v3
	s_cmp_lg_u64 s[0:1], 0
	s_subb_u32 s0, s39, 0
	s_cmp_ge_u32 s0, s31
	v_readfirstlane_b32 s39, v4
	s_cselect_b32 s1, -1, 0
	s_cmp_ge_u32 s39, s30
	s_cselect_b32 s39, -1, 0
	s_cmp_eq_u32 s0, s31
	s_cselect_b32 s0, s39, s1
	s_add_u32 s1, s34, 1
	s_addc_u32 s39, s29, 0
	s_add_u32 s40, s34, 2
	s_addc_u32 s41, s29, 0
	s_cmp_lg_u32 s0, 0
	s_cselect_b32 s0, s40, s1
	s_cselect_b32 s1, s41, s39
	s_cmp_lg_u64 vcc, 0
	s_subb_u32 s35, s25, s35
	s_cmp_ge_u32 s35, s31
	v_readfirstlane_b32 s40, v3
	s_cselect_b32 s39, -1, 0
	s_cmp_ge_u32 s40, s30
	s_cselect_b32 s40, -1, 0
	s_cmp_eq_u32 s35, s31
	s_cselect_b32 s35, s40, s39
	s_cmp_lg_u32 s35, 0
	s_cselect_b32 s1, s1, s29
	s_cselect_b32 s0, s0, s34
	s_cbranch_execnz .LBB0_9
.LBB0_8:                                ;   in Loop: Header=BB0_6 Depth=1
	v_cvt_f32_u32_e32 v3, s30
	s_sub_i32 s0, 0, s30
	v_rcp_iflag_f32_e32 v3, v3
	v_mul_f32_e32 v3, 0x4f7ffffe, v3
	v_cvt_u32_f32_e32 v3, v3
	v_readfirstlane_b32 s1, v3
	s_mul_i32 s0, s0, s1
	s_mul_hi_u32 s0, s1, s0
	s_add_i32 s1, s1, s0
	s_mul_hi_u32 s0, s24, s1
	s_mul_i32 s29, s0, s30
	s_sub_i32 s29, s24, s29
	s_add_i32 s1, s0, 1
	s_sub_i32 s34, s29, s30
	s_cmp_ge_u32 s29, s30
	s_cselect_b32 s0, s1, s0
	s_cselect_b32 s29, s34, s29
	s_add_i32 s1, s0, 1
	s_cmp_ge_u32 s29, s30
	s_cselect_b32 s0, s1, s0
	s_mov_b32 s1, s28
.LBB0_9:                                ;   in Loop: Header=BB0_6 Depth=1
	s_mul_i32 s23, s30, s23
	s_mul_hi_u32 s29, s30, s22
	s_add_i32 s23, s29, s23
	s_mul_i32 s29, s31, s22
	s_add_i32 s23, s23, s29
	s_mul_i32 s29, s0, s31
	s_mul_hi_u32 s31, s0, s30
	s_load_dwordx2 s[34:35], s[4:5], 0x0
	s_add_i32 s29, s31, s29
	s_mul_i32 s31, s1, s30
	s_mul_i32 s22, s30, s22
	s_add_i32 s29, s29, s31
	s_mul_i32 s30, s0, s30
	s_sub_u32 s24, s24, s30
	s_subb_u32 s25, s25, s29
	s_waitcnt lgkmcnt(0)
	s_mul_i32 s25, s34, s25
	s_mul_hi_u32 s29, s34, s24
	s_add_i32 s25, s29, s25
	s_mul_i32 s29, s35, s24
	s_add_i32 s25, s25, s29
	s_mul_i32 s24, s34, s24
	s_add_u32 s38, s24, s38
	s_addc_u32 s37, s25, s37
	s_add_u32 s26, s26, 1
	s_addc_u32 s27, s27, 0
	;; [unrolled: 2-line block ×3, first 2 shown]
	v_cmp_ge_u64_e32 vcc, s[26:27], v[1:2]
	s_add_u32 s12, s12, 8
	s_addc_u32 s13, s13, 0
	s_cbranch_vccnz .LBB0_12
; %bb.10:                               ;   in Loop: Header=BB0_6 Depth=1
	s_mov_b64 s[24:25], s[0:1]
	s_branch .LBB0_6
.LBB0_11:                               ;   in Loop: Header=BB0_6 Depth=1
                                        ; implicit-def: $sgpr0_sgpr1
	s_branch .LBB0_8
.LBB0_12:
	v_mov_b32_e32 v1, s22
	v_mov_b32_e32 v2, s23
	v_cmp_lt_u64_e32 vcc, s[6:7], v[1:2]
	s_mov_b64 s[24:25], 0
	s_cbranch_vccnz .LBB0_14
; %bb.13:
	v_cvt_f32_u32_e32 v1, s22
	s_sub_i32 s0, 0, s22
	v_rcp_iflag_f32_e32 v1, v1
	v_mul_f32_e32 v1, 0x4f7ffffe, v1
	v_cvt_u32_f32_e32 v1, v1
	v_readfirstlane_b32 s1, v1
	s_mul_i32 s0, s0, s1
	s_mul_hi_u32 s0, s1, s0
	s_add_i32 s1, s1, s0
	s_mul_hi_u32 s0, s6, s1
	s_mul_i32 s4, s0, s22
	s_sub_i32 s4, s6, s4
	s_add_i32 s1, s0, 1
	s_sub_i32 s5, s4, s22
	s_cmp_ge_u32 s4, s22
	s_cselect_b32 s0, s1, s0
	s_cselect_b32 s4, s5, s4
	s_add_i32 s1, s0, 1
	s_cmp_ge_u32 s4, s22
	s_cselect_b32 s24, s1, s0
.LBB0_14:
	s_lshl_b64 s[0:1], s[10:11], 3
	s_add_u32 s0, s14, s0
	s_addc_u32 s1, s15, s1
	s_load_dwordx2 s[0:1], s[0:1], 0x0
	s_mov_b32 s4, 0x2aaaaaab
	v_mul_hi_u32 v6, v0, s4
	v_mov_b32_e32 v1, s20
	v_mov_b32_e32 v2, s21
	s_waitcnt lgkmcnt(0)
	s_mul_i32 s1, s1, s24
	s_mul_hi_u32 s4, s0, s24
	s_mul_i32 s0, s0, s24
	s_add_i32 s1, s4, s1
	s_add_u32 s4, s0, s38
	s_addc_u32 s5, s1, s37
	s_add_u32 s0, s36, 6
	s_addc_u32 s1, s33, 0
	v_cmp_le_u64_e32 vcc, s[0:1], v[1:2]
	v_mul_u32_u24_e32 v1, 6, v6
	v_sub_u32_e32 v8, v0, v1
	v_mov_b32_e32 v2, s33
	v_add_co_u32_e64 v1, s[0:1], s36, v8
	v_addc_co_u32_e64 v2, s[0:1], 0, v2, s[0:1]
	v_cmp_gt_u64_e64 s[0:1], s[20:21], v[1:2]
	v_lshlrev_b32_e32 v9, 2, v6
	s_or_b64 s[6:7], vcc, s[0:1]
	v_add_u32_e32 v7, 42, v6
	s_and_saveexec_b64 s[0:1], s[6:7]
	s_cbranch_execz .LBB0_16
; %bb.15:
	v_mad_u64_u32 v[1:2], s[10:11], s18, v8, 0
	v_mad_u64_u32 v[3:4], s[10:11], s16, v6, 0
	v_add_u32_e32 v12, 0x54, v6
	v_add_u32_e32 v15, 0x7e, v6
	v_mad_u64_u32 v[10:11], s[10:11], s19, v8, v[2:3]
	v_mov_b32_e32 v2, v4
	v_mad_u64_u32 v[4:5], s[10:11], s17, v6, v[2:3]
	s_lshl_b64 s[10:11], s[4:5], 2
	s_add_u32 s12, s2, s10
	s_addc_u32 s10, s3, s11
	v_mov_b32_e32 v2, v10
	v_mov_b32_e32 v5, s10
	v_mad_u64_u32 v[10:11], s[10:11], s16, v7, 0
	v_lshlrev_b64 v[1:2], 2, v[1:2]
	v_add_co_u32_e32 v16, vcc, s12, v1
	v_addc_co_u32_e32 v17, vcc, v5, v2, vcc
	v_lshlrev_b64 v[1:2], 2, v[3:4]
	v_mov_b32_e32 v3, v11
	v_mad_u64_u32 v[3:4], s[10:11], s17, v7, v[3:4]
	v_mad_u64_u32 v[4:5], s[10:11], s16, v12, 0
	v_mov_b32_e32 v11, v3
	v_add_co_u32_e32 v1, vcc, v16, v1
	v_mov_b32_e32 v3, v5
	v_mad_u64_u32 v[12:13], s[10:11], s17, v12, v[3:4]
	v_mad_u64_u32 v[13:14], s[10:11], s16, v15, 0
	v_mov_b32_e32 v5, v12
	v_lshlrev_b64 v[3:4], 2, v[4:5]
	v_mov_b32_e32 v5, v14
	v_lshlrev_b64 v[10:11], 2, v[10:11]
	v_mad_u64_u32 v[14:15], s[10:11], s17, v15, v[5:6]
	v_addc_co_u32_e32 v2, vcc, v17, v2, vcc
	v_add_co_u32_e32 v10, vcc, v16, v10
	v_addc_co_u32_e32 v11, vcc, v17, v11, vcc
	v_add_co_u32_e32 v3, vcc, v16, v3
	v_lshlrev_b64 v[12:13], 2, v[13:14]
	v_addc_co_u32_e32 v4, vcc, v17, v4, vcc
	v_add_co_u32_e32 v12, vcc, v16, v12
	v_addc_co_u32_e32 v13, vcc, v17, v13, vcc
	global_load_dword v5, v[1:2], off
	global_load_dword v14, v[10:11], off
	;; [unrolled: 1-line block ×4, first 2 shown]
	s_movk_i32 s10, 0x2a0
	v_mul_lo_u32 v1, v8, s10
	v_add3_u32 v1, 0, v1, v9
	s_waitcnt vmcnt(2)
	ds_write2_b32 v1, v5, v14 offset1:42
	s_waitcnt vmcnt(0)
	ds_write2_b32 v1, v15, v16 offset0:84 offset1:126
.LBB0_16:
	s_or_b64 exec, exec, s[0:1]
	s_mov_b32 s0, 0x6186187
	v_mul_hi_u32 v5, v0, s0
	s_add_u32 s0, 0, 0xaaa80000
	s_addc_u32 s1, 0, 0xaa
	s_add_i32 s1, s1, 0x2aaaaa00
	s_mul_hi_u32 s13, s0, -6
	s_sub_i32 s13, s13, s0
	s_mul_i32 s14, s1, -6
	s_mul_i32 s10, s0, -6
	s_add_i32 s13, s13, s14
	s_mul_hi_u32 s11, s1, s10
	s_mul_i32 s12, s1, s10
	s_mul_i32 s15, s0, s13
	s_mul_hi_u32 s10, s0, s10
	s_mul_hi_u32 s14, s0, s13
	s_add_u32 s10, s10, s15
	s_addc_u32 s14, 0, s14
	s_add_u32 s10, s10, s12
	s_mul_hi_u32 s15, s1, s13
	s_addc_u32 s10, s14, s11
	s_addc_u32 s11, s15, 0
	s_mul_i32 s12, s1, s13
	v_mov_b32_e32 v1, s33
	v_add_co_u32_e32 v11, vcc, s36, v5
	s_add_u32 s10, s10, s12
	v_addc_co_u32_e32 v10, vcc, 0, v1, vcc
	v_mov_b32_e32 v1, s10
	s_addc_u32 s11, 0, s11
	v_add_co_u32_e32 v3, vcc, s0, v1
	s_cmp_lg_u64 vcc, 0
	s_addc_u32 s10, s1, s11
	v_mad_u64_u32 v[1:2], s[0:1], v11, s10, 0
	v_mul_hi_u32 v4, v11, v3
	s_waitcnt lgkmcnt(0)
	s_barrier
	v_add_co_u32_e32 v12, vcc, v4, v1
	v_addc_co_u32_e32 v13, vcc, 0, v2, vcc
	v_mad_u64_u32 v[1:2], s[0:1], v10, v3, 0
	v_mad_u64_u32 v[3:4], s[0:1], v10, s10, 0
	v_add_co_u32_e32 v1, vcc, v12, v1
	v_addc_co_u32_e32 v1, vcc, v13, v2, vcc
	v_addc_co_u32_e32 v2, vcc, 0, v4, vcc
	v_add_co_u32_e32 v1, vcc, v1, v3
	v_addc_co_u32_e32 v3, vcc, 0, v2, vcc
	v_mad_u64_u32 v[1:2], s[0:1], v1, 6, 0
	v_mad_u64_u32 v[2:3], s[0:1], v3, 6, v[2:3]
	v_sub_co_u32_e32 v1, vcc, v11, v1
	v_subb_co_u32_e32 v2, vcc, v10, v2, vcc
	v_subrev_co_u32_e32 v3, vcc, 6, v1
	v_subbrev_co_u32_e32 v4, vcc, 0, v2, vcc
	v_cmp_lt_u32_e32 vcc, 5, v3
	v_cndmask_b32_e64 v10, 0, -1, vcc
	v_cmp_eq_u32_e32 vcc, 0, v4
	v_cndmask_b32_e32 v4, -1, v10, vcc
	v_add_u32_e32 v10, -6, v3
	v_cmp_ne_u32_e32 vcc, 0, v4
	v_cndmask_b32_e32 v3, v3, v10, vcc
	v_cmp_lt_u32_e32 vcc, 5, v1
	v_cndmask_b32_e64 v4, 0, -1, vcc
	v_cmp_eq_u32_e32 vcc, 0, v2
	v_cndmask_b32_e32 v2, -1, v4, vcc
	v_cmp_ne_u32_e32 vcc, 0, v2
	v_cndmask_b32_e32 v1, v1, v3, vcc
	v_mul_u32_u24_e32 v13, 0xa8, v1
	v_mul_u32_u24_e32 v1, 42, v5
	v_sub_u32_e32 v12, v0, v1
	v_lshlrev_b32_e32 v3, 2, v12
	v_lshlrev_b32_e32 v2, 2, v13
	v_add_u32_e32 v15, 0, v3
	v_add_u32_e32 v10, v15, v2
	ds_read2_b32 v[0:1], v10 offset0:24 offset1:48
	ds_read2_b32 v[4:5], v10 offset0:120 offset1:144
	v_add3_u32 v14, 0, v2, v3
	ds_read2_b32 v[2:3], v10 offset0:72 offset1:96
	s_movk_i32 s0, 0x2b26
	s_mov_b32 s1, 0xb574
	s_waitcnt lgkmcnt(1)
	v_add_f16_e32 v16, v0, v5
	v_add_f16_e32 v18, v1, v4
	s_waitcnt lgkmcnt(0)
	v_add_f16_e32 v20, v2, v3
	v_add_f16_e32 v22, v18, v16
	v_sub_f16_e32 v23, v18, v16
	v_sub_f16_e32 v16, v16, v20
	v_sub_f16_sdwa v17, v0, v5 dst_sel:DWORD dst_unused:UNUSED_PAD src0_sel:WORD_1 src1_sel:WORD_1
	v_sub_f16_sdwa v19, v1, v4 dst_sel:DWORD dst_unused:UNUSED_PAD src0_sel:WORD_1 src1_sel:WORD_1
	;; [unrolled: 1-line block ×3, first 2 shown]
	v_sub_f16_e32 v18, v20, v18
	v_mul_f16_e32 v16, 0x3a52, v16
	v_add_f16_e32 v20, v20, v22
	v_add_f16_e32 v22, v21, v19
	v_sub_f16_e32 v24, v21, v19
	v_sub_f16_e32 v25, v17, v21
	v_mul_f16_e32 v21, 0x2b26, v18
	v_fma_f16 v18, v18, s0, v16
	s_movk_i32 s0, 0x39e0
	v_fma_f16 v26, v23, s0, -v21
	ds_read_b32 v21, v14
	s_mov_b32 s0, 0xb9e0
	v_sub_f16_e32 v19, v19, v17
	v_add_f16_e32 v17, v22, v17
	v_fma_f16 v16, v23, s0, -v16
	v_mul_f16_e32 v22, 0x3846, v24
	s_mov_b32 s0, 0xbb00
	v_mul_f16_e32 v23, 0xbb00, v19
	v_fma_f16 v19, v19, s0, -v22
	s_movk_i32 s0, 0x3574
	v_fma_f16 v24, v25, s1, v22
	v_fma_f16 v25, v25, s0, -v23
	s_mov_b32 s0, 0xbcab
	s_waitcnt lgkmcnt(0)
	v_add_f16_e32 v14, v21, v20
	v_fma_f16 v20, v20, s0, v14
	s_mov_b32 s0, 0xb70e
	v_add_f16_e32 v22, v18, v20
	v_add_f16_e32 v18, v26, v20
	;; [unrolled: 1-line block ×3, first 2 shown]
	v_fma_f16 v23, v17, s0, v24
	v_fma_f16 v19, v17, s0, v19
	;; [unrolled: 1-line block ×3, first 2 shown]
	v_sub_f16_e32 v16, v18, v19
	v_add_f16_e32 v17, v19, v18
	v_add_f16_e32 v19, v24, v20
	v_sub_f16_e32 v18, v20, v24
	v_add_f16_e32 v20, v22, v23
	v_cmp_gt_u32_e64 s[0:1], 24, v12
	v_lshlrev_b32_e32 v13, 1, v13
	s_and_saveexec_b64 s[10:11], s[0:1]
	s_cbranch_execz .LBB0_18
; %bb.17:
	v_sub_f16_e32 v25, v22, v23
	v_mul_i32_i24_e32 v22, 10, v12
	s_mov_b32 s12, 0x5040100
	v_add3_u32 v15, v15, v22, v13
	v_perm_b32 v24, v18, v17, s12
	v_perm_b32 v23, v16, v19, s12
	;; [unrolled: 1-line block ×3, first 2 shown]
	ds_write_b96 v15, v[22:24]
	ds_write_b16 v15, v25 offset:12
.LBB0_18:
	s_or_b64 exec, exec, s[10:11]
	v_cmp_gt_u32_e32 vcc, 28, v12
	v_lshlrev_b32_e32 v15, 1, v12
	s_waitcnt lgkmcnt(0)
	s_barrier
	s_and_saveexec_b64 s[10:11], vcc
	s_cbranch_execz .LBB0_20
; %bb.19:
	v_add3_u32 v14, 0, v13, v15
	v_add3_u32 v18, 0, v15, v13
	ds_read_u16 v14, v14
	ds_read_u16 v20, v18 offset:56
	ds_read_u16 v19, v18 offset:112
	;; [unrolled: 1-line block ×5, first 2 shown]
.LBB0_20:
	s_or_b64 exec, exec, s[10:11]
	v_add_f16_sdwa v22, v0, v5 dst_sel:DWORD dst_unused:UNUSED_PAD src0_sel:WORD_1 src1_sel:WORD_1
	v_sub_f16_e32 v0, v0, v5
	v_add_f16_sdwa v5, v1, v4 dst_sel:DWORD dst_unused:UNUSED_PAD src0_sel:WORD_1 src1_sel:WORD_1
	v_sub_f16_e32 v1, v1, v4
	;; [unrolled: 2-line block ×3, first 2 shown]
	v_add_f16_e32 v3, v5, v22
	v_sub_f16_e32 v23, v5, v22
	v_sub_f16_e32 v22, v22, v4
	v_add_f16_e32 v24, v2, v1
	v_add_f16_e32 v3, v4, v3
	v_sub_f16_e32 v5, v4, v5
	v_sub_f16_e32 v25, v2, v1
	v_sub_f16_e32 v2, v0, v2
	v_sub_f16_e32 v1, v1, v0
	v_add_f16_e32 v4, v24, v0
	v_add_f16_sdwa v0, v21, v3 dst_sel:DWORD dst_unused:UNUSED_PAD src0_sel:WORD_1 src1_sel:DWORD
	v_mul_f16_e32 v21, 0x3a52, v22
	s_movk_i32 s10, 0x2b26
	v_mul_f16_e32 v22, 0x2b26, v5
	v_fma_f16 v5, v5, s10, v21
	s_movk_i32 s10, 0x39e0
	v_fma_f16 v22, v23, s10, -v22
	s_mov_b32 s10, 0xb9e0
	v_mul_f16_e32 v24, 0x3846, v25
	v_fma_f16 v21, v23, s10, -v21
	s_mov_b32 s10, 0xb574
	s_mov_b32 s11, 0xbb00
	v_mul_f16_e32 v25, 0xbb00, v1
	s_mov_b32 s12, 0xbcab
	v_fma_f16 v23, v2, s10, v24
	s_movk_i32 s10, 0x3574
	v_fma_f16 v3, v3, s12, v0
	v_fma_f16 v1, v1, s11, -v24
	v_fma_f16 v2, v2, s10, -v25
	s_mov_b32 s10, 0xb70e
	v_add_f16_e32 v5, v5, v3
	v_add_f16_e32 v24, v22, v3
	;; [unrolled: 1-line block ×3, first 2 shown]
	v_fma_f16 v21, v4, s10, v23
	v_fma_f16 v1, v4, s10, v1
	;; [unrolled: 1-line block ×3, first 2 shown]
	v_sub_f16_e32 v22, v5, v21
	v_sub_f16_e32 v4, v25, v23
	v_add_f16_e32 v3, v1, v24
	v_sub_f16_e32 v2, v24, v1
	v_add_f16_e32 v1, v23, v25
	s_waitcnt lgkmcnt(0)
	s_barrier
	s_and_saveexec_b64 s[10:11], s[0:1]
	s_cbranch_execz .LBB0_22
; %bb.21:
	v_add_f16_e32 v5, v21, v5
	v_mul_i32_i24_e32 v21, 14, v12
	s_mov_b32 s0, 0x5040100
	v_add3_u32 v21, 0, v21, v13
	v_perm_b32 v25, v1, v2, s0
	v_perm_b32 v24, v3, v4, s0
	;; [unrolled: 1-line block ×3, first 2 shown]
	ds_write_b96 v21, v[23:25]
	ds_write_b16 v21, v5 offset:12
.LBB0_22:
	s_or_b64 exec, exec, s[10:11]
	s_waitcnt lgkmcnt(0)
	s_barrier
	s_and_saveexec_b64 s[0:1], vcc
	s_cbranch_execz .LBB0_24
; %bb.23:
	v_add3_u32 v0, 0, v13, v15
	v_add3_u32 v1, 0, v15, v13
	ds_read_u16 v0, v0
	ds_read_u16 v22, v1 offset:56
	ds_read_u16 v4, v1 offset:112
	;; [unrolled: 1-line block ×5, first 2 shown]
.LBB0_24:
	s_or_b64 exec, exec, s[0:1]
	v_mov_b32_e32 v5, 37
	v_mul_lo_u16_sdwa v5, v12, v5 dst_sel:DWORD dst_unused:UNUSED_PAD src0_sel:BYTE_0 src1_sel:DWORD
	v_sub_u16_sdwa v21, v12, v5 dst_sel:DWORD dst_unused:UNUSED_PAD src0_sel:DWORD src1_sel:BYTE_1
	v_lshrrev_b16_e32 v21, 1, v21
	v_and_b32_e32 v21, 0x7f, v21
	v_add_u16_sdwa v5, v21, v5 dst_sel:DWORD dst_unused:UNUSED_PAD src0_sel:DWORD src1_sel:BYTE_1
	v_lshrrev_b16_e32 v5, 2, v5
	v_mul_lo_u16_e32 v21, 7, v5
	v_sub_u16_e32 v21, v12, v21
	v_mov_b32_e32 v23, 5
	v_mul_u32_u24_sdwa v23, v21, v23 dst_sel:DWORD dst_unused:UNUSED_PAD src0_sel:BYTE_0 src1_sel:DWORD
	v_lshlrev_b32_e32 v27, 2, v23
	global_load_dwordx4 v[23:26], v27, s[8:9]
	global_load_dword v28, v27, s[8:9] offset:16
	s_mov_b32 s10, 0xbaee
	s_movk_i32 s11, 0x3aee
	s_waitcnt vmcnt(0) lgkmcnt(0)
	s_barrier
	v_mul_f16_sdwa v27, v22, v23 dst_sel:DWORD dst_unused:UNUSED_PAD src0_sel:DWORD src1_sel:WORD_1
	v_mul_f16_sdwa v30, v20, v23 dst_sel:DWORD dst_unused:UNUSED_PAD src0_sel:DWORD src1_sel:WORD_1
	v_mul_f16_sdwa v31, v4, v24 dst_sel:DWORD dst_unused:UNUSED_PAD src0_sel:DWORD src1_sel:WORD_1
	v_mul_f16_sdwa v32, v19, v24 dst_sel:DWORD dst_unused:UNUSED_PAD src0_sel:DWORD src1_sel:WORD_1
	v_mul_f16_sdwa v33, v3, v25 dst_sel:DWORD dst_unused:UNUSED_PAD src0_sel:DWORD src1_sel:WORD_1
	v_mul_f16_sdwa v34, v16, v25 dst_sel:DWORD dst_unused:UNUSED_PAD src0_sel:DWORD src1_sel:WORD_1
	v_mul_f16_sdwa v35, v2, v26 dst_sel:DWORD dst_unused:UNUSED_PAD src0_sel:DWORD src1_sel:WORD_1
	v_mul_f16_sdwa v36, v17, v26 dst_sel:DWORD dst_unused:UNUSED_PAD src0_sel:DWORD src1_sel:WORD_1
	v_mul_f16_sdwa v37, v1, v28 dst_sel:DWORD dst_unused:UNUSED_PAD src0_sel:DWORD src1_sel:WORD_1
	v_mul_f16_sdwa v38, v18, v28 dst_sel:DWORD dst_unused:UNUSED_PAD src0_sel:DWORD src1_sel:WORD_1
	v_fma_f16 v29, v20, v23, v27
	v_fma_f16 v20, v22, v23, -v30
	v_fma_f16 v22, v19, v24, v31
	v_fma_f16 v23, v4, v24, -v32
	;; [unrolled: 2-line block ×5, first 2 shown]
	v_add_f16_e32 v1, v4, v2
	v_add_f16_e32 v16, v19, v17
	v_sub_f16_e32 v3, v19, v17
	v_sub_f16_e32 v26, v4, v2
	v_fma_f16 v1, v1, -0.5, v29
	v_fma_f16 v16, v16, -0.5, v20
	v_fma_f16 v25, v3, s10, v1
	v_fma_f16 v18, v3, s11, v1
	;; [unrolled: 1-line block ×4, first 2 shown]
	s_and_saveexec_b64 s[0:1], vcc
	s_cbranch_execz .LBB0_26
; %bb.25:
	v_add_f16_e32 v1, v22, v24
	v_fma_f16 v1, v1, -0.5, v14
	v_sub_f16_e32 v3, v23, v27
	v_add_f16_e32 v14, v14, v22
	v_add_f16_e32 v4, v29, v4
	v_fma_f16 v16, v3, s11, v1
	v_fma_f16 v1, v3, s10, v1
	v_mul_f16_e32 v3, 0xbaee, v28
	v_add_f16_e32 v14, v14, v24
	v_add_f16_e32 v2, v4, v2
	v_fma_f16 v3, v25, 0.5, v3
	v_sub_f16_e32 v4, v14, v2
	v_add_f16_e32 v2, v14, v2
	s_movk_i32 s10, 0x54
	v_mov_b32_e32 v14, 1
	v_mul_f16_e32 v30, 0xbaee, v26
	v_sub_f16_e32 v32, v1, v3
	v_add_f16_e32 v1, v1, v3
	v_mad_u32_u24 v3, v5, s10, 0
	v_lshlrev_b32_sdwa v14, v14, v21 dst_sel:DWORD dst_unused:UNUSED_PAD src0_sel:DWORD src1_sel:BYTE_0
	v_fma_f16 v30, v18, -0.5, v30
	v_add3_u32 v3, v3, v14, v13
	v_sub_f16_e32 v31, v16, v30
	v_add_f16_e32 v16, v16, v30
	ds_write_b16 v3, v2
	ds_write_b16 v3, v1 offset:14
	ds_write_b16 v3, v16 offset:28
	;; [unrolled: 1-line block ×5, first 2 shown]
.LBB0_26:
	s_or_b64 exec, exec, s[0:1]
	v_add3_u32 v16, 0, v13, v15
	s_waitcnt lgkmcnt(0)
	s_barrier
	v_add3_u32 v14, 0, v15, v13
	ds_read_u16 v1, v16
	ds_read_u16 v4, v14 offset:84
	ds_read_u16 v3, v14 offset:168
	;; [unrolled: 1-line block ×3, first 2 shown]
	s_waitcnt lgkmcnt(0)
	s_barrier
	s_and_saveexec_b64 s[0:1], vcc
	s_cbranch_execz .LBB0_28
; %bb.27:
	v_add_f16_e32 v15, v0, v23
	v_add_f16_e32 v23, v23, v27
	v_fma_f16 v0, v23, -0.5, v0
	v_sub_f16_e32 v22, v22, v24
	s_movk_i32 s10, 0x3aee
	s_mov_b32 s11, 0xbaee
	v_mul_f16_e32 v24, -0.5, v26
	v_fma_f16 v23, v22, s10, v0
	v_fma_f16 v0, v22, s11, v0
	v_add_f16_e32 v19, v20, v19
	v_mul_f16_e32 v20, 0.5, v28
	v_fma_f16 v18, v18, s10, v24
	v_fma_f16 v20, v25, s10, v20
	v_add_f16_e32 v24, v0, v18
	v_sub_f16_e32 v0, v0, v18
	s_movk_i32 s10, 0x54
	v_mov_b32_e32 v18, 1
	v_add_f16_e32 v15, v15, v27
	v_add_f16_e32 v17, v19, v17
	v_mad_u32_u24 v5, v5, s10, 0
	v_lshlrev_b32_sdwa v18, v18, v21 dst_sel:DWORD dst_unused:UNUSED_PAD src0_sel:DWORD src1_sel:BYTE_0
	v_add_f16_e32 v19, v15, v17
	v_add3_u32 v5, v5, v18, v13
	v_add_f16_e32 v22, v23, v20
	v_sub_f16_e32 v15, v15, v17
	v_sub_f16_e32 v17, v23, v20
	ds_write_b16 v5, v19
	ds_write_b16 v5, v22 offset:14
	ds_write_b16 v5, v24 offset:28
	;; [unrolled: 1-line block ×5, first 2 shown]
.LBB0_28:
	s_or_b64 exec, exec, s[0:1]
	v_mul_i32_i24_e32 v17, 3, v12
	v_mov_b32_e32 v18, 0
	v_lshlrev_b64 v[17:18], 2, v[17:18]
	v_mov_b32_e32 v0, s9
	v_add_co_u32_e32 v17, vcc, s8, v17
	v_addc_co_u32_e32 v18, vcc, v0, v18, vcc
	s_waitcnt lgkmcnt(0)
	s_barrier
	global_load_dwordx3 v[17:19], v[17:18], off offset:140
	v_mul_lo_u32 v0, v12, v11
	v_mul_lo_u32 v11, v11, 42
	ds_read_u16 v5, v16
	ds_read_u16 v12, v14 offset:84
	ds_read_u16 v13, v14 offset:168
	;; [unrolled: 1-line block ×3, first 2 shown]
	s_add_i32 s0, 0, 0x7e0
	v_and_b32_e32 v15, 31, v0
	v_lshrrev_b32_e32 v16, 3, v0
	v_lshrrev_b32_e32 v20, 8, v0
	v_add_u32_e32 v0, v0, v11
	v_and_b32_e32 v21, 31, v0
	v_lshrrev_b32_e32 v22, 3, v0
	v_lshrrev_b32_e32 v23, 8, v0
	v_add_u32_e32 v0, v0, v11
	v_lshrrev_b32_e32 v25, 3, v0
	v_and_b32_e32 v16, 0x7c, v16
	v_and_b32_e32 v20, 0x7c, v20
	;; [unrolled: 1-line block ×6, first 2 shown]
	v_lshl_add_u32 v15, v15, 2, 0
	v_add_u32_e32 v16, s0, v16
	v_add_u32_e32 v20, s0, v20
	v_lshl_add_u32 v21, v21, 2, 0
	v_add_u32_e32 v22, s0, v22
	v_add_u32_e32 v23, s0, v23
	v_lshl_add_u32 v24, v24, 2, 0
	v_add_u32_e32 v25, s0, v25
	ds_read_b32 v15, v15 offset:2016
	ds_read_b32 v16, v16 offset:128
	;; [unrolled: 1-line block ×8, first 2 shown]
	s_waitcnt lgkmcnt(7)
	v_lshrrev_b32_e32 v26, 16, v15
	s_waitcnt lgkmcnt(6)
	v_mul_f16_sdwa v27, v26, v16 dst_sel:DWORD dst_unused:UNUSED_PAD src0_sel:DWORD src1_sel:WORD_1
	v_mul_f16_sdwa v28, v15, v16 dst_sel:DWORD dst_unused:UNUSED_PAD src0_sel:DWORD src1_sel:WORD_1
	v_fma_f16 v15, v15, v16, -v27
	v_fma_f16 v16, v26, v16, v28
	s_waitcnt lgkmcnt(5)
	v_mul_f16_sdwa v26, v16, v20 dst_sel:DWORD dst_unused:UNUSED_PAD src0_sel:DWORD src1_sel:WORD_1
	v_mul_f16_sdwa v27, v15, v20 dst_sel:DWORD dst_unused:UNUSED_PAD src0_sel:DWORD src1_sel:WORD_1
	v_fma_f16 v15, v20, v15, -v26
	v_fma_f16 v16, v20, v16, v27
	s_waitcnt lgkmcnt(4)
	v_lshrrev_b32_e32 v29, 16, v21
	s_waitcnt vmcnt(0)
	v_mul_f16_sdwa v20, v12, v17 dst_sel:DWORD dst_unused:UNUSED_PAD src0_sel:DWORD src1_sel:WORD_1
	v_mul_f16_sdwa v26, v4, v17 dst_sel:DWORD dst_unused:UNUSED_PAD src0_sel:DWORD src1_sel:WORD_1
	;; [unrolled: 1-line block ×6, first 2 shown]
	v_fma_f16 v4, v4, v17, v20
	v_fma_f16 v12, v12, v17, -v26
	v_fma_f16 v3, v3, v18, v27
	v_fma_f16 v13, v13, v18, -v28
	;; [unrolled: 2-line block ×3, first 2 shown]
	v_sub_f16_e32 v3, v1, v3
	v_sub_f16_e32 v13, v5, v13
	;; [unrolled: 1-line block ×4, first 2 shown]
	v_fma_f16 v1, v1, 2.0, -v3
	v_fma_f16 v5, v5, 2.0, -v13
	;; [unrolled: 1-line block ×4, first 2 shown]
	v_sub_f16_e32 v4, v1, v4
	v_sub_f16_e32 v12, v5, v12
	v_fma_f16 v1, v1, 2.0, -v4
	v_fma_f16 v5, v5, 2.0, -v12
	v_mul_f16_e32 v17, v5, v16
	v_mul_f16_e32 v16, v1, v16
	v_fma_f16 v5, v5, v15, -v16
	s_waitcnt lgkmcnt(3)
	v_mul_f16_sdwa v16, v21, v22 dst_sel:DWORD dst_unused:UNUSED_PAD src0_sel:DWORD src1_sel:WORD_1
	v_fma_f16 v1, v1, v15, v17
	v_mul_f16_sdwa v15, v29, v22 dst_sel:DWORD dst_unused:UNUSED_PAD src0_sel:DWORD src1_sel:WORD_1
	v_fma_f16 v16, v29, v22, v16
	v_fma_f16 v15, v21, v22, -v15
	s_waitcnt lgkmcnt(2)
	v_mul_f16_sdwa v17, v16, v23 dst_sel:DWORD dst_unused:UNUSED_PAD src0_sel:DWORD src1_sel:WORD_1
	v_sub_f16_e32 v2, v13, v2
	v_fma_f16 v17, v23, v15, -v17
	v_mul_f16_sdwa v15, v15, v23 dst_sel:DWORD dst_unused:UNUSED_PAD src0_sel:DWORD src1_sel:WORD_1
	v_add_f16_e32 v14, v3, v14
	v_fma_f16 v13, v13, 2.0, -v2
	v_fma_f16 v15, v23, v16, v15
	v_fma_f16 v3, v3, 2.0, -v14
	v_mul_f16_e32 v16, v13, v15
	v_fma_f16 v16, v3, v17, v16
	v_mul_f16_e32 v3, v3, v15
	v_fma_f16 v3, v13, v17, -v3
	s_waitcnt lgkmcnt(1)
	v_lshrrev_b32_e32 v13, 16, v24
	s_waitcnt lgkmcnt(0)
	v_mul_f16_sdwa v17, v24, v25 dst_sel:DWORD dst_unused:UNUSED_PAD src0_sel:DWORD src1_sel:WORD_1
	v_mul_f16_sdwa v15, v13, v25 dst_sel:DWORD dst_unused:UNUSED_PAD src0_sel:DWORD src1_sel:WORD_1
	v_fma_f16 v13, v13, v25, v17
	v_lshrrev_b32_e32 v17, 8, v0
	v_and_b32_e32 v17, 0x7c, v17
	v_add_u32_e32 v17, s0, v17
	ds_read_b32 v17, v17 offset:256
	v_add_u32_e32 v0, v0, v11
	v_and_b32_e32 v11, 31, v0
	v_lshrrev_b32_e32 v18, 3, v0
	v_lshrrev_b32_e32 v0, 8, v0
	v_fma_f16 v15, v24, v25, -v15
	v_and_b32_e32 v18, 0x7c, v18
	v_and_b32_e32 v0, 0x7c, v0
	s_waitcnt lgkmcnt(0)
	v_mul_f16_sdwa v19, v13, v17 dst_sel:DWORD dst_unused:UNUSED_PAD src0_sel:DWORD src1_sel:WORD_1
	v_lshl_add_u32 v11, v11, 2, 0
	v_add_u32_e32 v18, s0, v18
	v_add_u32_e32 v0, s0, v0
	v_fma_f16 v19, v17, v15, -v19
	v_mul_f16_sdwa v15, v15, v17 dst_sel:DWORD dst_unused:UNUSED_PAD src0_sel:DWORD src1_sel:WORD_1
	ds_read_b32 v11, v11 offset:2016
	ds_read_b32 v18, v18 offset:128
	;; [unrolled: 1-line block ×3, first 2 shown]
	v_fma_f16 v13, v17, v13, v15
	v_mul_f16_e32 v15, v12, v13
	v_fma_f16 v15, v4, v19, v15
	v_mul_f16_e32 v4, v4, v13
	v_fma_f16 v4, v12, v19, -v4
	s_waitcnt lgkmcnt(2)
	v_lshrrev_b32_e32 v12, 16, v11
	s_waitcnt lgkmcnt(1)
	v_mul_f16_sdwa v13, v12, v18 dst_sel:DWORD dst_unused:UNUSED_PAD src0_sel:DWORD src1_sel:WORD_1
	v_fma_f16 v13, v11, v18, -v13
	v_mul_f16_sdwa v11, v11, v18 dst_sel:DWORD dst_unused:UNUSED_PAD src0_sel:DWORD src1_sel:WORD_1
	v_fma_f16 v11, v12, v18, v11
	s_waitcnt lgkmcnt(0)
	v_mul_f16_sdwa v12, v11, v0 dst_sel:DWORD dst_unused:UNUSED_PAD src0_sel:DWORD src1_sel:WORD_1
	v_fma_f16 v12, v0, v13, -v12
	v_mul_f16_sdwa v13, v13, v0 dst_sel:DWORD dst_unused:UNUSED_PAD src0_sel:DWORD src1_sel:WORD_1
	v_fma_f16 v0, v0, v11, v13
	v_mul_f16_e32 v11, v2, v0
	v_mul_f16_e32 v0, v14, v0
	v_fma_f16 v11, v14, v12, v11
	v_fma_f16 v0, v2, v12, -v0
	v_pack_b32_f16 v1, v1, v5
	v_pack_b32_f16 v2, v16, v3
	s_barrier
	ds_write2_b32 v10, v1, v2 offset1:42
	v_pack_b32_f16 v1, v15, v4
	v_pack_b32_f16 v0, v11, v0
	ds_write2_b32 v10, v1, v0 offset0:84 offset1:126
	s_waitcnt lgkmcnt(0)
	s_barrier
	s_and_saveexec_b64 s[0:1], s[6:7]
	s_cbranch_execz .LBB0_30
; %bb.29:
	v_mad_u64_u32 v[0:1], s[0:1], s18, v8, 0
	v_mad_u64_u32 v[2:3], s[0:1], s16, v6, 0
	;; [unrolled: 1-line block ×3, first 2 shown]
	v_mov_b32_e32 v1, v3
	v_mad_u64_u32 v[10:11], s[0:1], s17, v6, v[1:2]
	s_movk_i32 s0, 0x2a0
	v_mul_lo_u32 v5, v8, s0
	s_lshl_b64 s[0:1], s[4:5], 2
	s_add_u32 s2, s2, s0
	s_addc_u32 s0, s3, s1
	v_mov_b32_e32 v1, v4
	v_mov_b32_e32 v3, v10
	v_add3_u32 v10, 0, v5, v9
	v_mov_b32_e32 v11, s0
	v_mad_u64_u32 v[8:9], s[0:1], s16, v7, 0
	v_lshlrev_b64 v[0:1], 2, v[0:1]
	ds_read2_b32 v[4:5], v10 offset1:42
	v_add_co_u32_e32 v12, vcc, s2, v0
	v_addc_co_u32_e32 v11, vcc, v11, v1, vcc
	v_lshlrev_b64 v[0:1], 2, v[2:3]
	v_mov_b32_e32 v2, v9
	v_mad_u64_u32 v[2:3], s[0:1], s17, v7, v[2:3]
	v_add_co_u32_e32 v0, vcc, v12, v0
	v_addc_co_u32_e32 v1, vcc, v11, v1, vcc
	s_waitcnt lgkmcnt(0)
	global_store_dword v[0:1], v4, off
	v_mov_b32_e32 v9, v2
	v_add_u32_e32 v4, 0x54, v6
	v_lshlrev_b64 v[0:1], 2, v[8:9]
	v_mad_u64_u32 v[2:3], s[0:1], s16, v4, 0
	v_add_co_u32_e32 v0, vcc, v12, v0
	v_addc_co_u32_e32 v1, vcc, v11, v1, vcc
	global_store_dword v[0:1], v5, off
	v_mov_b32_e32 v0, v3
	v_mad_u64_u32 v[0:1], s[0:1], s17, v4, v[0:1]
	v_add_u32_e32 v6, 0x7e, v6
	v_mad_u64_u32 v[4:5], s[0:1], s16, v6, 0
	v_mov_b32_e32 v3, v0
	ds_read2_b32 v[0:1], v10 offset0:84 offset1:126
	v_lshlrev_b64 v[2:3], 2, v[2:3]
	v_mad_u64_u32 v[5:6], s[0:1], s17, v6, v[5:6]
	v_add_co_u32_e32 v2, vcc, v12, v2
	v_addc_co_u32_e32 v3, vcc, v11, v3, vcc
	s_waitcnt lgkmcnt(0)
	global_store_dword v[2:3], v0, off
	v_lshlrev_b64 v[2:3], 2, v[4:5]
	v_add_co_u32_e32 v2, vcc, v12, v2
	v_addc_co_u32_e32 v3, vcc, v11, v3, vcc
	global_store_dword v[2:3], v1, off
.LBB0_30:
	s_endpgm
	.section	.rodata,"a",@progbits
	.p2align	6, 0x0
	.amdhsa_kernel fft_rtc_back_len168_factors_7_6_4_wgs_252_tpt_42_halfLds_half_ip_CI_sbcc_twdbase5_3step
		.amdhsa_group_segment_fixed_size 0
		.amdhsa_private_segment_fixed_size 0
		.amdhsa_kernarg_size 96
		.amdhsa_user_sgpr_count 6
		.amdhsa_user_sgpr_private_segment_buffer 1
		.amdhsa_user_sgpr_dispatch_ptr 0
		.amdhsa_user_sgpr_queue_ptr 0
		.amdhsa_user_sgpr_kernarg_segment_ptr 1
		.amdhsa_user_sgpr_dispatch_id 0
		.amdhsa_user_sgpr_flat_scratch_init 0
		.amdhsa_user_sgpr_private_segment_size 0
		.amdhsa_uses_dynamic_stack 0
		.amdhsa_system_sgpr_private_segment_wavefront_offset 0
		.amdhsa_system_sgpr_workgroup_id_x 1
		.amdhsa_system_sgpr_workgroup_id_y 0
		.amdhsa_system_sgpr_workgroup_id_z 0
		.amdhsa_system_sgpr_workgroup_info 0
		.amdhsa_system_vgpr_workitem_id 0
		.amdhsa_next_free_vgpr 39
		.amdhsa_next_free_sgpr 43
		.amdhsa_reserve_vcc 1
		.amdhsa_reserve_flat_scratch 0
		.amdhsa_float_round_mode_32 0
		.amdhsa_float_round_mode_16_64 0
		.amdhsa_float_denorm_mode_32 3
		.amdhsa_float_denorm_mode_16_64 3
		.amdhsa_dx10_clamp 1
		.amdhsa_ieee_mode 1
		.amdhsa_fp16_overflow 0
		.amdhsa_exception_fp_ieee_invalid_op 0
		.amdhsa_exception_fp_denorm_src 0
		.amdhsa_exception_fp_ieee_div_zero 0
		.amdhsa_exception_fp_ieee_overflow 0
		.amdhsa_exception_fp_ieee_underflow 0
		.amdhsa_exception_fp_ieee_inexact 0
		.amdhsa_exception_int_div_zero 0
	.end_amdhsa_kernel
	.text
.Lfunc_end0:
	.size	fft_rtc_back_len168_factors_7_6_4_wgs_252_tpt_42_halfLds_half_ip_CI_sbcc_twdbase5_3step, .Lfunc_end0-fft_rtc_back_len168_factors_7_6_4_wgs_252_tpt_42_halfLds_half_ip_CI_sbcc_twdbase5_3step
                                        ; -- End function
	.section	.AMDGPU.csdata,"",@progbits
; Kernel info:
; codeLenInByte = 5380
; NumSgprs: 47
; NumVgprs: 39
; ScratchSize: 0
; MemoryBound: 0
; FloatMode: 240
; IeeeMode: 1
; LDSByteSize: 0 bytes/workgroup (compile time only)
; SGPRBlocks: 5
; VGPRBlocks: 9
; NumSGPRsForWavesPerEU: 47
; NumVGPRsForWavesPerEU: 39
; Occupancy: 6
; WaveLimiterHint : 1
; COMPUTE_PGM_RSRC2:SCRATCH_EN: 0
; COMPUTE_PGM_RSRC2:USER_SGPR: 6
; COMPUTE_PGM_RSRC2:TRAP_HANDLER: 0
; COMPUTE_PGM_RSRC2:TGID_X_EN: 1
; COMPUTE_PGM_RSRC2:TGID_Y_EN: 0
; COMPUTE_PGM_RSRC2:TGID_Z_EN: 0
; COMPUTE_PGM_RSRC2:TIDIG_COMP_CNT: 0
	.type	__hip_cuid_c08598563665b88e,@object ; @__hip_cuid_c08598563665b88e
	.section	.bss,"aw",@nobits
	.globl	__hip_cuid_c08598563665b88e
__hip_cuid_c08598563665b88e:
	.byte	0                               ; 0x0
	.size	__hip_cuid_c08598563665b88e, 1

	.ident	"AMD clang version 19.0.0git (https://github.com/RadeonOpenCompute/llvm-project roc-6.4.0 25133 c7fe45cf4b819c5991fe208aaa96edf142730f1d)"
	.section	".note.GNU-stack","",@progbits
	.addrsig
	.addrsig_sym __hip_cuid_c08598563665b88e
	.amdgpu_metadata
---
amdhsa.kernels:
  - .args:
      - .actual_access:  read_only
        .address_space:  global
        .offset:         0
        .size:           8
        .value_kind:     global_buffer
      - .address_space:  global
        .offset:         8
        .size:           8
        .value_kind:     global_buffer
      - .offset:         16
        .size:           8
        .value_kind:     by_value
      - .actual_access:  read_only
        .address_space:  global
        .offset:         24
        .size:           8
        .value_kind:     global_buffer
      - .actual_access:  read_only
        .address_space:  global
        .offset:         32
        .size:           8
        .value_kind:     global_buffer
      - .offset:         40
        .size:           8
        .value_kind:     by_value
      - .actual_access:  read_only
        .address_space:  global
        .offset:         48
        .size:           8
        .value_kind:     global_buffer
      - .actual_access:  read_only
        .address_space:  global
        .offset:         56
        .size:           8
        .value_kind:     global_buffer
      - .offset:         64
        .size:           4
        .value_kind:     by_value
      - .actual_access:  read_only
        .address_space:  global
        .offset:         72
        .size:           8
        .value_kind:     global_buffer
      - .actual_access:  read_only
        .address_space:  global
        .offset:         80
        .size:           8
        .value_kind:     global_buffer
      - .address_space:  global
        .offset:         88
        .size:           8
        .value_kind:     global_buffer
    .group_segment_fixed_size: 0
    .kernarg_segment_align: 8
    .kernarg_segment_size: 96
    .language:       OpenCL C
    .language_version:
      - 2
      - 0
    .max_flat_workgroup_size: 252
    .name:           fft_rtc_back_len168_factors_7_6_4_wgs_252_tpt_42_halfLds_half_ip_CI_sbcc_twdbase5_3step
    .private_segment_fixed_size: 0
    .sgpr_count:     47
    .sgpr_spill_count: 0
    .symbol:         fft_rtc_back_len168_factors_7_6_4_wgs_252_tpt_42_halfLds_half_ip_CI_sbcc_twdbase5_3step.kd
    .uniform_work_group_size: 1
    .uses_dynamic_stack: false
    .vgpr_count:     39
    .vgpr_spill_count: 0
    .wavefront_size: 64
amdhsa.target:   amdgcn-amd-amdhsa--gfx906
amdhsa.version:
  - 1
  - 2
...

	.end_amdgpu_metadata
